;; amdgpu-corpus repo=ROCm/rocFFT kind=compiled arch=gfx1030 opt=O3
	.text
	.amdgcn_target "amdgcn-amd-amdhsa--gfx1030"
	.amdhsa_code_object_version 6
	.protected	fft_rtc_back_len1404_factors_2_2_3_13_3_3_wgs_117_tpt_117_halfLds_half_ip_CI_unitstride_sbrr_C2R_dirReg ; -- Begin function fft_rtc_back_len1404_factors_2_2_3_13_3_3_wgs_117_tpt_117_halfLds_half_ip_CI_unitstride_sbrr_C2R_dirReg
	.globl	fft_rtc_back_len1404_factors_2_2_3_13_3_3_wgs_117_tpt_117_halfLds_half_ip_CI_unitstride_sbrr_C2R_dirReg
	.p2align	8
	.type	fft_rtc_back_len1404_factors_2_2_3_13_3_3_wgs_117_tpt_117_halfLds_half_ip_CI_unitstride_sbrr_C2R_dirReg,@function
fft_rtc_back_len1404_factors_2_2_3_13_3_3_wgs_117_tpt_117_halfLds_half_ip_CI_unitstride_sbrr_C2R_dirReg: ; @fft_rtc_back_len1404_factors_2_2_3_13_3_3_wgs_117_tpt_117_halfLds_half_ip_CI_unitstride_sbrr_C2R_dirReg
; %bb.0:
	s_clause 0x2
	s_load_dwordx4 s[8:11], s[4:5], 0x0
	s_load_dwordx2 s[2:3], s[4:5], 0x50
	s_load_dwordx2 s[12:13], s[4:5], 0x18
	v_mul_u32_u24_e32 v1, 0x231, v0
	v_mov_b32_e32 v3, 0
	v_add_nc_u32_sdwa v5, s6, v1 dst_sel:DWORD dst_unused:UNUSED_PAD src0_sel:DWORD src1_sel:WORD_1
	v_mov_b32_e32 v1, 0
	v_mov_b32_e32 v6, v3
	v_mov_b32_e32 v2, 0
	s_waitcnt lgkmcnt(0)
	v_cmp_lt_u64_e64 s0, s[10:11], 2
	s_and_b32 vcc_lo, exec_lo, s0
	s_cbranch_vccnz .LBB0_8
; %bb.1:
	s_load_dwordx2 s[0:1], s[4:5], 0x10
	v_mov_b32_e32 v1, 0
	s_add_u32 s6, s12, 8
	v_mov_b32_e32 v2, 0
	s_addc_u32 s7, s13, 0
	s_mov_b64 s[16:17], 1
	s_waitcnt lgkmcnt(0)
	s_add_u32 s14, s0, 8
	s_addc_u32 s15, s1, 0
.LBB0_2:                                ; =>This Inner Loop Header: Depth=1
	s_load_dwordx2 s[18:19], s[14:15], 0x0
                                        ; implicit-def: $vgpr7_vgpr8
	s_mov_b32 s0, exec_lo
	s_waitcnt lgkmcnt(0)
	v_or_b32_e32 v4, s19, v6
	v_cmpx_ne_u64_e32 0, v[3:4]
	s_xor_b32 s1, exec_lo, s0
	s_cbranch_execz .LBB0_4
; %bb.3:                                ;   in Loop: Header=BB0_2 Depth=1
	v_cvt_f32_u32_e32 v4, s18
	v_cvt_f32_u32_e32 v7, s19
	s_sub_u32 s0, 0, s18
	s_subb_u32 s20, 0, s19
	v_fmac_f32_e32 v4, 0x4f800000, v7
	v_rcp_f32_e32 v4, v4
	v_mul_f32_e32 v4, 0x5f7ffffc, v4
	v_mul_f32_e32 v7, 0x2f800000, v4
	v_trunc_f32_e32 v7, v7
	v_fmac_f32_e32 v4, 0xcf800000, v7
	v_cvt_u32_f32_e32 v7, v7
	v_cvt_u32_f32_e32 v4, v4
	v_mul_lo_u32 v8, s0, v7
	v_mul_hi_u32 v9, s0, v4
	v_mul_lo_u32 v10, s20, v4
	v_add_nc_u32_e32 v8, v9, v8
	v_mul_lo_u32 v9, s0, v4
	v_add_nc_u32_e32 v8, v8, v10
	v_mul_hi_u32 v10, v4, v9
	v_mul_lo_u32 v11, v4, v8
	v_mul_hi_u32 v12, v4, v8
	v_mul_hi_u32 v13, v7, v9
	v_mul_lo_u32 v9, v7, v9
	v_mul_hi_u32 v14, v7, v8
	v_mul_lo_u32 v8, v7, v8
	v_add_co_u32 v10, vcc_lo, v10, v11
	v_add_co_ci_u32_e32 v11, vcc_lo, 0, v12, vcc_lo
	v_add_co_u32 v9, vcc_lo, v10, v9
	v_add_co_ci_u32_e32 v9, vcc_lo, v11, v13, vcc_lo
	v_add_co_ci_u32_e32 v10, vcc_lo, 0, v14, vcc_lo
	v_add_co_u32 v8, vcc_lo, v9, v8
	v_add_co_ci_u32_e32 v9, vcc_lo, 0, v10, vcc_lo
	v_add_co_u32 v4, vcc_lo, v4, v8
	v_add_co_ci_u32_e32 v7, vcc_lo, v7, v9, vcc_lo
	v_mul_hi_u32 v8, s0, v4
	v_mul_lo_u32 v10, s20, v4
	v_mul_lo_u32 v9, s0, v7
	v_add_nc_u32_e32 v8, v8, v9
	v_mul_lo_u32 v9, s0, v4
	v_add_nc_u32_e32 v8, v8, v10
	v_mul_hi_u32 v10, v4, v9
	v_mul_lo_u32 v11, v4, v8
	v_mul_hi_u32 v12, v4, v8
	v_mul_hi_u32 v13, v7, v9
	v_mul_lo_u32 v9, v7, v9
	v_mul_hi_u32 v14, v7, v8
	v_mul_lo_u32 v8, v7, v8
	v_add_co_u32 v10, vcc_lo, v10, v11
	v_add_co_ci_u32_e32 v11, vcc_lo, 0, v12, vcc_lo
	v_add_co_u32 v9, vcc_lo, v10, v9
	v_add_co_ci_u32_e32 v9, vcc_lo, v11, v13, vcc_lo
	v_add_co_ci_u32_e32 v10, vcc_lo, 0, v14, vcc_lo
	v_add_co_u32 v8, vcc_lo, v9, v8
	v_add_co_ci_u32_e32 v9, vcc_lo, 0, v10, vcc_lo
	v_add_co_u32 v4, vcc_lo, v4, v8
	v_add_co_ci_u32_e32 v11, vcc_lo, v7, v9, vcc_lo
	v_mul_hi_u32 v13, v5, v4
	v_mad_u64_u32 v[9:10], null, v6, v4, 0
	v_mad_u64_u32 v[7:8], null, v5, v11, 0
	;; [unrolled: 1-line block ×3, first 2 shown]
	v_add_co_u32 v4, vcc_lo, v13, v7
	v_add_co_ci_u32_e32 v7, vcc_lo, 0, v8, vcc_lo
	v_add_co_u32 v4, vcc_lo, v4, v9
	v_add_co_ci_u32_e32 v4, vcc_lo, v7, v10, vcc_lo
	v_add_co_ci_u32_e32 v7, vcc_lo, 0, v12, vcc_lo
	v_add_co_u32 v4, vcc_lo, v4, v11
	v_add_co_ci_u32_e32 v9, vcc_lo, 0, v7, vcc_lo
	v_mul_lo_u32 v10, s19, v4
	v_mad_u64_u32 v[7:8], null, s18, v4, 0
	v_mul_lo_u32 v11, s18, v9
	v_sub_co_u32 v7, vcc_lo, v5, v7
	v_add3_u32 v8, v8, v11, v10
	v_sub_nc_u32_e32 v10, v6, v8
	v_subrev_co_ci_u32_e64 v10, s0, s19, v10, vcc_lo
	v_add_co_u32 v11, s0, v4, 2
	v_add_co_ci_u32_e64 v12, s0, 0, v9, s0
	v_sub_co_u32 v13, s0, v7, s18
	v_sub_co_ci_u32_e32 v8, vcc_lo, v6, v8, vcc_lo
	v_subrev_co_ci_u32_e64 v10, s0, 0, v10, s0
	v_cmp_le_u32_e32 vcc_lo, s18, v13
	v_cmp_eq_u32_e64 s0, s19, v8
	v_cndmask_b32_e64 v13, 0, -1, vcc_lo
	v_cmp_le_u32_e32 vcc_lo, s19, v10
	v_cndmask_b32_e64 v14, 0, -1, vcc_lo
	v_cmp_le_u32_e32 vcc_lo, s18, v7
	;; [unrolled: 2-line block ×3, first 2 shown]
	v_cndmask_b32_e64 v15, 0, -1, vcc_lo
	v_cmp_eq_u32_e32 vcc_lo, s19, v10
	v_cndmask_b32_e64 v7, v15, v7, s0
	v_cndmask_b32_e32 v10, v14, v13, vcc_lo
	v_add_co_u32 v13, vcc_lo, v4, 1
	v_add_co_ci_u32_e32 v14, vcc_lo, 0, v9, vcc_lo
	v_cmp_ne_u32_e32 vcc_lo, 0, v10
	v_cndmask_b32_e32 v8, v14, v12, vcc_lo
	v_cndmask_b32_e32 v10, v13, v11, vcc_lo
	v_cmp_ne_u32_e32 vcc_lo, 0, v7
	v_cndmask_b32_e32 v8, v9, v8, vcc_lo
	v_cndmask_b32_e32 v7, v4, v10, vcc_lo
.LBB0_4:                                ;   in Loop: Header=BB0_2 Depth=1
	s_andn2_saveexec_b32 s0, s1
	s_cbranch_execz .LBB0_6
; %bb.5:                                ;   in Loop: Header=BB0_2 Depth=1
	v_cvt_f32_u32_e32 v4, s18
	s_sub_i32 s1, 0, s18
	v_rcp_iflag_f32_e32 v4, v4
	v_mul_f32_e32 v4, 0x4f7ffffe, v4
	v_cvt_u32_f32_e32 v4, v4
	v_mul_lo_u32 v7, s1, v4
	v_mul_hi_u32 v7, v4, v7
	v_add_nc_u32_e32 v4, v4, v7
	v_mul_hi_u32 v4, v5, v4
	v_mul_lo_u32 v7, v4, s18
	v_add_nc_u32_e32 v8, 1, v4
	v_sub_nc_u32_e32 v7, v5, v7
	v_subrev_nc_u32_e32 v9, s18, v7
	v_cmp_le_u32_e32 vcc_lo, s18, v7
	v_cndmask_b32_e32 v7, v7, v9, vcc_lo
	v_cndmask_b32_e32 v4, v4, v8, vcc_lo
	v_cmp_le_u32_e32 vcc_lo, s18, v7
	v_add_nc_u32_e32 v8, 1, v4
	v_cndmask_b32_e32 v7, v4, v8, vcc_lo
	v_mov_b32_e32 v8, v3
.LBB0_6:                                ;   in Loop: Header=BB0_2 Depth=1
	s_or_b32 exec_lo, exec_lo, s0
	s_load_dwordx2 s[0:1], s[6:7], 0x0
	v_mul_lo_u32 v4, v8, s18
	v_mul_lo_u32 v11, v7, s19
	v_mad_u64_u32 v[9:10], null, v7, s18, 0
	s_add_u32 s16, s16, 1
	s_addc_u32 s17, s17, 0
	s_add_u32 s6, s6, 8
	s_addc_u32 s7, s7, 0
	;; [unrolled: 2-line block ×3, first 2 shown]
	v_add3_u32 v4, v10, v11, v4
	v_sub_co_u32 v5, vcc_lo, v5, v9
	v_sub_co_ci_u32_e32 v4, vcc_lo, v6, v4, vcc_lo
	s_waitcnt lgkmcnt(0)
	v_mul_lo_u32 v6, s1, v5
	v_mul_lo_u32 v4, s0, v4
	v_mad_u64_u32 v[1:2], null, s0, v5, v[1:2]
	v_cmp_ge_u64_e64 s0, s[16:17], s[10:11]
	s_and_b32 vcc_lo, exec_lo, s0
	v_add3_u32 v2, v6, v2, v4
	s_cbranch_vccnz .LBB0_9
; %bb.7:                                ;   in Loop: Header=BB0_2 Depth=1
	v_mov_b32_e32 v5, v7
	v_mov_b32_e32 v6, v8
	s_branch .LBB0_2
.LBB0_8:
	v_mov_b32_e32 v8, v6
	v_mov_b32_e32 v7, v5
.LBB0_9:
	s_lshl_b64 s[0:1], s[10:11], 3
	v_mul_hi_u32 v5, 0x2302303, v0
	s_add_u32 s0, s12, s0
	s_addc_u32 s1, s13, s1
	s_load_dwordx2 s[0:1], s[0:1], 0x0
	s_load_dwordx2 s[4:5], s[4:5], 0x20
	s_waitcnt lgkmcnt(0)
	v_mul_lo_u32 v3, s0, v8
	v_mul_lo_u32 v4, s1, v7
	v_mad_u64_u32 v[1:2], null, s0, v7, v[1:2]
	v_cmp_gt_u64_e32 vcc_lo, s[4:5], v[7:8]
	v_add3_u32 v2, v4, v2, v3
	v_mul_u32_u24_e32 v4, 0x75, v5
	v_lshlrev_b64 v[2:3], 2, v[1:2]
	v_sub_nc_u32_e32 v0, v0, v4
	s_and_saveexec_b32 s1, vcc_lo
	s_cbranch_execz .LBB0_13
; %bb.10:
	v_mov_b32_e32 v1, 0
	v_add_co_u32 v4, s0, s2, v2
	v_add_co_ci_u32_e64 v5, s0, s3, v3, s0
	v_lshlrev_b64 v[6:7], 2, v[0:1]
	s_mov_b32 s4, exec_lo
	v_add_co_u32 v6, s0, v4, v6
	v_add_co_ci_u32_e64 v7, s0, v5, v7, s0
	v_add_co_u32 v8, s0, 0x800, v6
	v_add_co_ci_u32_e64 v9, s0, 0, v7, s0
	;; [unrolled: 2-line block ×3, first 2 shown]
	s_clause 0xb
	global_load_dword v12, v[6:7], off
	global_load_dword v13, v[6:7], off offset:468
	global_load_dword v14, v[6:7], off offset:936
	;; [unrolled: 1-line block ×11, first 2 shown]
	v_lshl_add_u32 v11, v0, 2, 0
	v_add_nc_u32_e32 v19, 0x200, v11
	v_add_nc_u32_e32 v20, 0x600, v11
	;; [unrolled: 1-line block ×5, first 2 shown]
	s_waitcnt vmcnt(10)
	ds_write2_b32 v11, v12, v13 offset1:117
	s_waitcnt vmcnt(8)
	ds_write2_b32 v19, v14, v15 offset0:106 offset1:223
	s_waitcnt vmcnt(6)
	ds_write2_b32 v20, v6, v7 offset0:84 offset1:201
	;; [unrolled: 2-line block ×5, first 2 shown]
	v_cmpx_eq_u32_e32 0x74, v0
	s_cbranch_execz .LBB0_12
; %bb.11:
	v_add_co_u32 v4, s0, 0x1000, v4
	v_add_co_ci_u32_e64 v5, s0, 0, v5, s0
	v_mov_b32_e32 v0, 0x74
	global_load_dword v4, v[4:5], off offset:1520
	s_waitcnt vmcnt(0)
	ds_write_b32 v1, v4 offset:5616
.LBB0_12:
	s_or_b32 exec_lo, exec_lo, s4
.LBB0_13:
	s_or_b32 exec_lo, exec_lo, s1
	v_lshlrev_b32_e32 v1, 2, v0
	s_waitcnt lgkmcnt(0)
	s_barrier
	buffer_gl0_inv
	s_add_u32 s1, s8, 0x15e8
	v_add_nc_u32_e32 v23, 0, v1
	v_sub_nc_u32_e32 v6, 0, v1
	s_addc_u32 s4, s9, 0
	s_mov_b32 s5, exec_lo
                                        ; implicit-def: $vgpr4_vgpr5
	ds_read_u16 v9, v23
	ds_read_u16 v10, v6 offset:5616
	s_waitcnt lgkmcnt(0)
	v_add_f16_e32 v8, v10, v9
	v_sub_f16_e32 v7, v9, v10
	v_cmpx_ne_u32_e32 0, v0
	s_xor_b32 s5, exec_lo, s5
	s_cbranch_execz .LBB0_15
; %bb.14:
	v_mov_b32_e32 v1, 0
	v_add_f16_e32 v8, v10, v9
	v_sub_f16_e32 v9, v9, v10
	v_lshlrev_b64 v[4:5], 2, v[0:1]
	v_add_co_u32 v4, s0, s1, v4
	v_add_co_ci_u32_e64 v5, s0, s4, v5, s0
	global_load_dword v4, v[4:5], off
	ds_read_u16 v5, v6 offset:5618
	ds_read_u16 v7, v23 offset:2
	s_waitcnt lgkmcnt(0)
	v_add_f16_e32 v10, v5, v7
	v_sub_f16_e32 v5, v7, v5
	s_waitcnt vmcnt(0)
	v_lshrrev_b32_e32 v11, 16, v4
	v_fma_f16 v12, -v9, v11, v8
	v_fma_f16 v13, v10, v11, -v5
	v_fma_f16 v7, v10, v11, v5
	v_fma_f16 v8, v9, v11, v8
	v_fmac_f16_e32 v12, v4, v10
	v_fmac_f16_e32 v13, v9, v4
	;; [unrolled: 1-line block ×3, first 2 shown]
	v_fma_f16 v8, -v4, v10, v8
	v_mov_b32_e32 v5, v1
	v_mov_b32_e32 v4, v0
	v_pack_b32_f16 v9, v12, v13
	ds_write_b32 v6, v9 offset:5616
.LBB0_15:
	s_andn2_saveexec_b32 s0, s5
	s_cbranch_execz .LBB0_17
; %bb.16:
	v_mov_b32_e32 v1, 0
	ds_read_b32 v4, v1 offset:2808
	s_waitcnt lgkmcnt(0)
	v_pk_mul_f16 v9, 0xc0004000, v4
	v_mov_b32_e32 v4, 0
	v_mov_b32_e32 v5, 0
	ds_write_b32 v1, v9 offset:2808
.LBB0_17:
	s_or_b32 exec_lo, exec_lo, s0
	v_lshlrev_b64 v[4:5], 2, v[4:5]
	v_add_nc_u32_e32 v28, 0xa00, v23
	v_add_nc_u32_e32 v24, 0x200, v23
	;; [unrolled: 1-line block ×5, first 2 shown]
	v_add_co_u32 v4, s0, s1, v4
	v_add_co_ci_u32_e64 v5, s0, s4, v5, s0
	v_add_nc_u32_e32 v21, 0x249, v0
	v_and_b32_e32 v22, 1, v0
	v_add_nc_u32_e32 v20, 0x1d4, v0
	s_clause 0x3
	global_load_dword v1, v[4:5], off offset:468
	global_load_dword v9, v[4:5], off offset:936
	;; [unrolled: 1-line block ×4, first 2 shown]
	v_add_co_u32 v4, s0, 0x800, v4
	v_add_co_ci_u32_e64 v5, s0, 0, v5, s0
	v_and_b32_e32 v34, 1, v21
	v_lshlrev_b32_e32 v36, 2, v22
	v_lshl_add_u32 v30, v20, 3, 0
	global_load_dword v4, v[4:5], off offset:292
	v_perm_b32 v5, v7, v8, 0x5040100
	v_lshlrev_b32_e32 v39, 2, v34
	v_lshl_add_u32 v35, v21, 3, 0
	v_cmp_gt_u32_e64 s0, 0x6c, v0
	ds_write_b32 v23, v5
	ds_read_b32 v5, v23 offset:468
	ds_read_b32 v7, v6 offset:5148
	s_waitcnt lgkmcnt(0)
	v_add_f16_e32 v8, v5, v7
	v_add_f16_sdwa v12, v7, v5 dst_sel:DWORD dst_unused:UNUSED_PAD src0_sel:WORD_1 src1_sel:WORD_1
	v_sub_f16_e32 v13, v5, v7
	v_sub_f16_sdwa v5, v5, v7 dst_sel:DWORD dst_unused:UNUSED_PAD src0_sel:WORD_1 src1_sel:WORD_1
	s_waitcnt vmcnt(4)
	v_lshrrev_b32_e32 v14, 16, v1
	v_fma_f16 v7, v13, v14, v8
	v_fma_f16 v15, v12, v14, v5
	v_fma_f16 v8, -v13, v14, v8
	v_fma_f16 v5, v12, v14, -v5
	v_fma_f16 v7, -v1, v12, v7
	v_fmac_f16_e32 v15, v13, v1
	v_fmac_f16_e32 v8, v1, v12
	;; [unrolled: 1-line block ×3, first 2 shown]
	v_pack_b32_f16 v1, v7, v15
	s_waitcnt vmcnt(3)
	v_lshrrev_b32_e32 v7, 16, v9
	v_pack_b32_f16 v5, v8, v5
	ds_write_b32 v23, v1 offset:468
	ds_write_b32 v6, v5 offset:5148
	ds_read_b32 v1, v23 offset:936
	ds_read_b32 v5, v6 offset:4680
	s_waitcnt lgkmcnt(0)
	v_add_f16_e32 v8, v1, v5
	v_add_f16_sdwa v12, v5, v1 dst_sel:DWORD dst_unused:UNUSED_PAD src0_sel:WORD_1 src1_sel:WORD_1
	v_sub_f16_e32 v13, v1, v5
	v_sub_f16_sdwa v1, v1, v5 dst_sel:DWORD dst_unused:UNUSED_PAD src0_sel:WORD_1 src1_sel:WORD_1
	v_fma_f16 v5, v13, v7, v8
	v_fma_f16 v14, v12, v7, v1
	v_fma_f16 v8, -v13, v7, v8
	v_fma_f16 v1, v12, v7, -v1
	s_waitcnt vmcnt(2)
	v_lshrrev_b32_e32 v7, 16, v10
	v_fma_f16 v5, -v9, v12, v5
	v_fmac_f16_e32 v14, v13, v9
	v_fmac_f16_e32 v8, v9, v12
	;; [unrolled: 1-line block ×3, first 2 shown]
	v_pack_b32_f16 v5, v5, v14
	v_pack_b32_f16 v1, v8, v1
	ds_write_b32 v23, v5 offset:936
	ds_write_b32 v6, v1 offset:4680
	ds_read_b32 v1, v23 offset:1404
	ds_read_b32 v5, v6 offset:4212
	s_waitcnt lgkmcnt(0)
	v_add_f16_e32 v8, v1, v5
	v_add_f16_sdwa v9, v5, v1 dst_sel:DWORD dst_unused:UNUSED_PAD src0_sel:WORD_1 src1_sel:WORD_1
	v_sub_f16_e32 v12, v1, v5
	v_sub_f16_sdwa v1, v1, v5 dst_sel:DWORD dst_unused:UNUSED_PAD src0_sel:WORD_1 src1_sel:WORD_1
	v_fma_f16 v5, v12, v7, v8
	v_fma_f16 v13, v9, v7, v1
	v_fma_f16 v8, -v12, v7, v8
	v_fma_f16 v1, v9, v7, -v1
	s_waitcnt vmcnt(1)
	v_lshrrev_b32_e32 v7, 16, v11
	v_fma_f16 v5, -v10, v9, v5
	v_fmac_f16_e32 v13, v12, v10
	v_fmac_f16_e32 v8, v10, v9
	;; [unrolled: 1-line block ×3, first 2 shown]
	v_pack_b32_f16 v5, v5, v13
	v_pack_b32_f16 v1, v8, v1
	ds_write_b32 v23, v5 offset:1404
	ds_write_b32 v6, v1 offset:4212
	ds_read_b32 v1, v23 offset:1872
	ds_read_b32 v5, v6 offset:3744
	s_waitcnt lgkmcnt(0)
	v_add_f16_e32 v8, v1, v5
	v_add_f16_sdwa v9, v5, v1 dst_sel:DWORD dst_unused:UNUSED_PAD src0_sel:WORD_1 src1_sel:WORD_1
	v_sub_f16_e32 v10, v1, v5
	v_sub_f16_sdwa v1, v1, v5 dst_sel:DWORD dst_unused:UNUSED_PAD src0_sel:WORD_1 src1_sel:WORD_1
	v_fma_f16 v5, v10, v7, v8
	v_fma_f16 v12, v9, v7, v1
	v_fma_f16 v8, -v10, v7, v8
	v_fma_f16 v1, v9, v7, -v1
	v_add_nc_u32_e32 v7, 0xea, v0
	v_fma_f16 v5, -v11, v9, v5
	v_fmac_f16_e32 v12, v10, v11
	v_fmac_f16_e32 v8, v11, v9
	;; [unrolled: 1-line block ×3, first 2 shown]
	v_add_nc_u32_e32 v9, 0x75, v0
	v_lshl_add_u32 v27, v7, 3, 0
	v_pack_b32_f16 v5, v5, v12
	v_pack_b32_f16 v1, v8, v1
	ds_write_b32 v23, v5 offset:1872
	ds_write_b32 v6, v1 offset:3744
	ds_read_b32 v1, v23 offset:2340
	ds_read_b32 v5, v6 offset:3276
	s_waitcnt vmcnt(0)
	v_lshrrev_b32_e32 v8, 16, v4
	v_and_b32_e32 v31, 1, v9
	v_lshlrev_b32_e32 v37, 2, v31
	s_waitcnt lgkmcnt(0)
	v_add_f16_e32 v10, v1, v5
	v_add_f16_sdwa v11, v5, v1 dst_sel:DWORD dst_unused:UNUSED_PAD src0_sel:WORD_1 src1_sel:WORD_1
	v_sub_f16_e32 v12, v1, v5
	v_sub_f16_sdwa v5, v1, v5 dst_sel:DWORD dst_unused:UNUSED_PAD src0_sel:WORD_1 src1_sel:WORD_1
	v_add_nc_u32_e32 v1, 0x15f, v0
	v_fma_f16 v13, v12, v8, v10
	v_fma_f16 v14, v11, v8, v5
	v_fma_f16 v10, -v12, v8, v10
	v_fma_f16 v5, v11, v8, -v5
	v_and_b32_e32 v33, 1, v1
	v_fma_f16 v13, -v4, v11, v13
	v_fmac_f16_e32 v14, v12, v4
	v_fmac_f16_e32 v10, v4, v11
	;; [unrolled: 1-line block ×3, first 2 shown]
	v_lshl_add_u32 v8, v0, 2, v23
	v_lshlrev_b32_e32 v38, 2, v33
	v_pack_b32_f16 v4, v13, v14
	v_lshl_add_u32 v29, v1, 3, 0
	v_pack_b32_f16 v5, v10, v5
	ds_write_b32 v23, v4 offset:2340
	ds_write_b32 v6, v5 offset:3276
	s_waitcnt lgkmcnt(0)
	s_barrier
	buffer_gl0_inv
	s_barrier
	buffer_gl0_inv
	ds_read2_b32 v[4:5], v23 offset1:117
	ds_read2_b32 v[10:11], v28 offset0:62 offset1:179
	ds_read2_b32 v[12:13], v24 offset0:106 offset1:223
	;; [unrolled: 1-line block ×5, first 2 shown]
	v_lshl_add_u32 v6, v9, 3, 0
	s_waitcnt lgkmcnt(0)
	s_barrier
	buffer_gl0_inv
	v_pk_add_f16 v10, v4, v10 neg_lo:[0,1] neg_hi:[0,1]
	v_pk_add_f16 v11, v5, v11 neg_lo:[0,1] neg_hi:[0,1]
	;; [unrolled: 1-line block ×6, first 2 shown]
	v_pk_fma_f16 v4, v4, 2.0, v10 op_sel_hi:[1,0,1] neg_lo:[0,0,1] neg_hi:[0,0,1]
	v_pk_fma_f16 v5, v5, 2.0, v11 op_sel_hi:[1,0,1] neg_lo:[0,0,1] neg_hi:[0,0,1]
	;; [unrolled: 1-line block ×6, first 2 shown]
	ds_write2_b32 v8, v4, v10 offset1:1
	ds_write2_b32 v6, v5, v11 offset1:1
	;; [unrolled: 1-line block ×6, first 2 shown]
	s_waitcnt lgkmcnt(0)
	s_barrier
	buffer_gl0_inv
	s_clause 0x3
	global_load_dword v5, v39, s[8:9]
	global_load_dword v27, v36, s[8:9]
	;; [unrolled: 1-line block ×4, first 2 shown]
	v_lshlrev_b32_e32 v4, 1, v0
	ds_read2_b32 v[13:14], v32 offset0:40 offset1:157
	ds_read2_b32 v[15:16], v28 offset0:62 offset1:179
	v_lshlrev_b32_e32 v10, 1, v9
	v_lshlrev_b32_e32 v8, 1, v7
	v_and_or_b32 v11, 0xfc, v4, v22
	v_lshlrev_b32_e32 v6, 1, v1
	v_lshlrev_b32_e32 v17, 1, v20
	;; [unrolled: 1-line block ×3, first 2 shown]
	v_and_or_b32 v19, 0x1fc, v10, v31
	v_lshl_add_u32 v39, v11, 2, 0
	ds_read2_b32 v[11:12], v26 offset0:18 offset1:135
	v_and_or_b32 v20, 0x3fc, v8, v22
	v_and_or_b32 v21, 0x3fc, v6, v33
	;; [unrolled: 1-line block ×4, first 2 shown]
	v_lshl_add_u32 v33, v19, 2, 0
	v_lshl_add_u32 v34, v20, 2, 0
	;; [unrolled: 1-line block ×5, first 2 shown]
	ds_read2_b32 v[17:18], v23 offset1:117
	ds_read2_b32 v[19:20], v24 offset0:106 offset1:223
	ds_read2_b32 v[21:22], v25 offset0:84 offset1:201
	v_and_b32_e32 v35, 3, v0
	v_and_b32_e32 v37, 3, v9
	;; [unrolled: 1-line block ×3, first 2 shown]
	s_waitcnt vmcnt(0) lgkmcnt(0)
	s_barrier
	v_lshlrev_b32_e32 v36, 3, v35
	buffer_gl0_inv
	v_lshlrev_b32_e32 v31, 3, v37
	v_pk_mul_f16 v43, v5, v12 op_sel:[0,1]
	v_pk_mul_f16 v44, v27, v11 op_sel:[0,1]
	v_pk_mul_f16 v45, v29, v14 op_sel:[0,1]
	v_pk_mul_f16 v48, v27, v15 op_sel:[0,1]
	v_pk_mul_f16 v47, v30, v16 op_sel:[0,1]
	v_pk_mul_f16 v46, v27, v13 op_sel:[0,1]
	v_pk_fma_f16 v49, v5, v12, v43 op_sel:[0,0,1] op_sel_hi:[1,1,0]
	v_pk_fma_f16 v5, v5, v12, v43 op_sel:[0,0,1] op_sel_hi:[1,0,0] neg_lo:[1,0,0] neg_hi:[1,0,0]
	v_pk_fma_f16 v12, v27, v11, v44 op_sel:[0,0,1] op_sel_hi:[1,1,0]
	v_pk_fma_f16 v11, v27, v11, v44 op_sel:[0,0,1] op_sel_hi:[1,0,0] neg_lo:[1,0,0] neg_hi:[1,0,0]
	;; [unrolled: 2-line block ×6, first 2 shown]
	v_bfi_b32 v11, 0xffff, v12, v11
	v_bfi_b32 v12, 0xffff, v43, v14
	;; [unrolled: 1-line block ×6, first 2 shown]
	v_pk_add_f16 v12, v20, v12 neg_lo:[0,1] neg_hi:[0,1]
	v_pk_add_f16 v14, v17, v14 neg_lo:[0,1] neg_hi:[0,1]
	;; [unrolled: 1-line block ×6, first 2 shown]
	v_pk_fma_f16 v17, v17, 2.0, v14 op_sel_hi:[1,0,1] neg_lo:[0,0,1] neg_hi:[0,0,1]
	v_pk_fma_f16 v18, v18, 2.0, v15 op_sel_hi:[1,0,1] neg_lo:[0,0,1] neg_hi:[0,0,1]
	v_pk_fma_f16 v19, v19, 2.0, v13 op_sel_hi:[1,0,1] neg_lo:[0,0,1] neg_hi:[0,0,1]
	v_pk_fma_f16 v20, v20, 2.0, v12 op_sel_hi:[1,0,1] neg_lo:[0,0,1] neg_hi:[0,0,1]
	v_pk_fma_f16 v21, v21, 2.0, v11 op_sel_hi:[1,0,1] neg_lo:[0,0,1] neg_hi:[0,0,1]
	v_pk_fma_f16 v16, v22, 2.0, v5 op_sel_hi:[1,0,1] neg_lo:[0,0,1] neg_hi:[0,0,1]
	ds_write2_b32 v39, v17, v14 offset1:2
	ds_write2_b32 v33, v18, v15 offset1:2
	;; [unrolled: 1-line block ×6, first 2 shown]
	v_and_b32_e32 v5, 3, v1
	s_waitcnt lgkmcnt(0)
	s_barrier
	buffer_gl0_inv
	s_clause 0x1
	global_load_dwordx2 v[11:12], v36, s[8:9] offset:8
	global_load_dwordx2 v[17:18], v31, s[8:9] offset:8
	v_lshlrev_b32_e32 v13, 3, v38
	v_lshlrev_b32_e32 v14, 3, v5
	s_clause 0x1
	global_load_dwordx2 v[19:20], v13, s[8:9] offset:8
	global_load_dwordx2 v[21:22], v14, s[8:9] offset:8
	v_lshrrev_b32_e32 v13, 2, v0
	v_lshrrev_b32_e32 v15, 2, v9
	;; [unrolled: 1-line block ×4, first 2 shown]
	v_mul_u32_u24_e32 v13, 12, v13
	v_mul_u32_u24_e32 v36, 12, v29
	;; [unrolled: 1-line block ×3, first 2 shown]
	v_or_b32_e32 v34, v13, v35
	ds_read2_b32 v[13:14], v23 offset1:117
	v_mul_u32_u24_e32 v35, 12, v15
	ds_read2_b32 v[15:16], v24 offset0:106 offset1:223
	ds_read2_b32 v[26:27], v26 offset0:18 offset1:135
	;; [unrolled: 1-line block ×5, first 2 shown]
	v_or_b32_e32 v5, v39, v5
	v_or_b32_e32 v35, v35, v37
	v_or_b32_e32 v36, v36, v38
	v_lshl_add_u32 v37, v34, 2, 0
	s_waitcnt vmcnt(0) lgkmcnt(0)
	v_lshl_add_u32 v48, v5, 2, 0
	v_lshl_add_u32 v38, v35, 2, 0
	;; [unrolled: 1-line block ×3, first 2 shown]
	s_barrier
	buffer_gl0_inv
	v_lshrrev_b32_e32 v35, 16, v13
	v_lshrrev_b32_e32 v34, 16, v14
	;; [unrolled: 1-line block ×12, first 2 shown]
	v_mul_f16_sdwa v49, v11, v43 dst_sel:DWORD dst_unused:UNUSED_PAD src0_sel:WORD_1 src1_sel:DWORD
	v_mul_f16_sdwa v50, v11, v30 dst_sel:DWORD dst_unused:UNUSED_PAD src0_sel:WORD_1 src1_sel:DWORD
	;; [unrolled: 1-line block ×10, first 2 shown]
	v_mul_f16_sdwa v59, v5, v20 dst_sel:DWORD dst_unused:UNUSED_PAD src0_sel:DWORD src1_sel:WORD_1
	v_mul_f16_sdwa v60, v26, v20 dst_sel:DWORD dst_unused:UNUSED_PAD src0_sel:DWORD src1_sel:WORD_1
	;; [unrolled: 1-line block ×6, first 2 shown]
	v_fma_f16 v43, v11, v43, -v50
	v_fma_f16 v44, v12, v44, -v52
	v_fmac_f16_e32 v49, v11, v30
	v_fmac_f16_e32 v51, v12, v32
	;; [unrolled: 1-line block ×4, first 2 shown]
	v_fma_f16 v11, v17, v45, -v54
	v_fma_f16 v12, v18, v46, -v56
	v_fmac_f16_e32 v57, v19, v28
	v_fma_f16 v17, v19, v47, -v58
	v_fmac_f16_e32 v59, v26, v20
	;; [unrolled: 2-line block ×4, first 2 shown]
	v_fma_f16 v26, v42, v22, -v64
	v_add_f16_e32 v20, v49, v51
	v_add_f16_e32 v21, v35, v43
	;; [unrolled: 1-line block ×6, first 2 shown]
	v_sub_f16_e32 v27, v43, v44
	v_sub_f16_e32 v28, v49, v51
	v_add_f16_e32 v43, v57, v59
	v_add_f16_e32 v49, v17, v18
	;; [unrolled: 1-line block ×4, first 2 shown]
	v_sub_f16_e32 v46, v53, v55
	v_add_f16_e32 v42, v15, v57
	v_sub_f16_e32 v50, v57, v59
	v_add_f16_e32 v53, v61, v63
	;; [unrolled: 2-line block ×3, first 2 shown]
	v_add_f16_e32 v57, v5, v26
	v_add_f16_e32 v5, v21, v44
	v_fma_f16 v21, -0.5, v20, v13
	v_fmac_f16_e32 v35, -0.5, v22
	v_sub_f16_e32 v31, v11, v12
	v_add_f16_e32 v45, v36, v17
	v_fmac_f16_e32 v14, -0.5, v30
	v_fmac_f16_e32 v34, -0.5, v33
	v_sub_f16_e32 v47, v17, v18
	v_add_f16_e32 v11, v19, v51
	v_fma_f16 v19, -0.5, v43, v15
	v_fmac_f16_e32 v36, -0.5, v49
	v_add_f16_e32 v52, v16, v61
	v_sub_f16_e32 v58, v61, v63
	v_add_f16_e32 v41, v32, v12
	v_fmac_f16_e32 v16, -0.5, v53
	v_fmac_f16_e32 v40, -0.5, v57
	v_fmamk_f16 v12, v27, 0xbaee, v21
	v_fmamk_f16 v44, v28, 0x3aee, v35
	v_fmac_f16_e32 v21, 0x3aee, v27
	v_fmac_f16_e32 v35, 0xbaee, v28
	v_add_f16_e32 v22, v29, v55
	v_add_f16_e32 v17, v42, v59
	;; [unrolled: 1-line block ×3, first 2 shown]
	v_fmamk_f16 v13, v31, 0xbaee, v14
	v_fmamk_f16 v45, v46, 0x3aee, v34
	v_fmac_f16_e32 v14, 0x3aee, v31
	v_fmac_f16_e32 v34, 0xbaee, v46
	v_fmamk_f16 v18, v47, 0xbaee, v19
	v_fmamk_f16 v46, v50, 0x3aee, v36
	v_add_f16_e32 v20, v52, v63
	v_add_f16_e32 v43, v56, v26
	v_fmac_f16_e32 v19, 0x3aee, v47
	v_fmac_f16_e32 v36, 0xbaee, v50
	v_fmamk_f16 v15, v54, 0xbaee, v16
	v_fmac_f16_e32 v16, 0x3aee, v54
	v_fmamk_f16 v47, v58, 0x3aee, v40
	v_fmac_f16_e32 v40, 0xbaee, v58
	v_pack_b32_f16 v26, v11, v5
	v_pack_b32_f16 v30, v12, v44
	;; [unrolled: 1-line block ×12, first 2 shown]
	ds_write2_b32 v37, v26, v30 offset1:4
	ds_write_b32 v37, v31 offset:32
	ds_write2_b32 v38, v27, v32 offset1:4
	ds_write_b32 v38, v33 offset:32
	;; [unrolled: 2-line block ×4, first 2 shown]
	s_waitcnt lgkmcnt(0)
	s_barrier
	buffer_gl0_inv
                                        ; implicit-def: $vgpr49
                                        ; implicit-def: $vgpr48
	s_and_saveexec_b32 s1, s0
	s_cbranch_execz .LBB0_19
; %bb.18:
	v_add_nc_u32_e32 v5, 0xc00, v23
	v_add_nc_u32_e32 v15, 0x1000, v23
	;; [unrolled: 1-line block ×3, first 2 shown]
	ds_read2_b32 v[11:12], v23 offset1:108
	ds_read_b32 v48, v23 offset:5184
	ds_read2_b32 v[21:22], v24 offset0:88 offset1:196
	ds_read2_b32 v[13:14], v25 offset0:48 offset1:156
	;; [unrolled: 1-line block ×5, first 2 shown]
	s_waitcnt lgkmcnt(6)
	v_lshrrev_b32_e32 v5, 16, v11
	s_waitcnt lgkmcnt(5)
	v_lshrrev_b32_e32 v49, 16, v48
	v_lshrrev_b32_e32 v44, 16, v12
	s_waitcnt lgkmcnt(4)
	v_lshrrev_b32_e32 v35, 16, v21
	;; [unrolled: 3-line block ×6, first 2 shown]
	v_lshrrev_b32_e32 v46, 16, v18
.LBB0_19:
	s_or_b32 exec_lo, exec_lo, s1
	s_barrier
	buffer_gl0_inv
	s_and_saveexec_b32 s1, s0
	s_cbranch_execz .LBB0_21
; %bb.20:
	v_and_b32_e32 v24, 0xff, v0
	v_mov_b32_e32 v26, 12
	v_mul_lo_u16 v24, 0xab, v24
	v_lshrrev_b16 v24, 11, v24
	v_mul_lo_u16 v25, v24, 12
	v_sub_nc_u16 v25, v0, v25
	v_mul_u32_u24_sdwa v26, v25, v26 dst_sel:DWORD dst_unused:UNUSED_PAD src0_sel:BYTE_0 src1_sel:DWORD
	v_lshlrev_b32_e32 v26, 2, v26
	s_clause 0x2
	global_load_dwordx4 v[50:53], v26, s[8:9] offset:40
	global_load_dwordx4 v[54:57], v26, s[8:9] offset:72
	;; [unrolled: 1-line block ×3, first 2 shown]
	s_waitcnt vmcnt(2)
	v_mul_f16_sdwa v62, v44, v50 dst_sel:DWORD dst_unused:UNUSED_PAD src0_sel:DWORD src1_sel:WORD_1
	s_waitcnt vmcnt(1)
	v_mul_f16_sdwa v26, v49, v57 dst_sel:DWORD dst_unused:UNUSED_PAD src0_sel:DWORD src1_sel:WORD_1
	v_mul_f16_sdwa v63, v48, v57 dst_sel:DWORD dst_unused:UNUSED_PAD src0_sel:DWORD src1_sel:WORD_1
	;; [unrolled: 1-line block ×8, first 2 shown]
	s_waitcnt vmcnt(0)
	v_mul_f16_sdwa v33, v42, v59 dst_sel:DWORD dst_unused:UNUSED_PAD src0_sel:DWORD src1_sel:WORD_1
	v_fmac_f16_e32 v39, v21, v51
	v_fmac_f16_e32 v26, v48, v57
	v_fma_f16 v21, v49, v57, -v63
	v_fma_f16 v48, v44, v50, -v64
	v_fmac_f16_e32 v62, v12, v50
	v_mul_f16_sdwa v28, v47, v55 dst_sel:DWORD dst_unused:UNUSED_PAD src0_sel:DWORD src1_sel:WORD_1
	v_mul_f16_sdwa v67, v15, v55 dst_sel:DWORD dst_unused:UNUSED_PAD src0_sel:DWORD src1_sel:WORD_1
	;; [unrolled: 1-line block ×10, first 2 shown]
	v_fmac_f16_e32 v37, v22, v52
	v_fma_f16 v22, v40, v56, -v65
	v_fmac_f16_e32 v27, v16, v56
	v_fma_f16 v44, v35, v51, -v66
	v_fmac_f16_e32 v33, v17, v59
	v_sub_f16_e32 v17, v62, v26
	v_sub_f16_e32 v35, v48, v21
	v_add_f16_e32 v50, v11, v62
	v_add_f16_e32 v51, v5, v48
	v_mul_f16_sdwa v70, v13, v53 dst_sel:DWORD dst_unused:UNUSED_PAD src0_sel:DWORD src1_sel:WORD_1
	v_mul_f16_sdwa v72, v14, v58 dst_sel:DWORD dst_unused:UNUSED_PAD src0_sel:DWORD src1_sel:WORD_1
	;; [unrolled: 1-line block ×4, first 2 shown]
	v_fmac_f16_e32 v28, v15, v55
	v_fma_f16 v12, v47, v55, -v67
	v_fma_f16 v41, v41, v52, -v68
	v_fmac_f16_e32 v38, v13, v53
	v_fmac_f16_e32 v29, v20, v54
	v_fma_f16 v15, v43, v54, -v69
	v_fmac_f16_e32 v31, v14, v58
	v_fmac_f16_e32 v30, v19, v61
	v_fma_f16 v19, v36, v61, -v71
	v_fma_f16 v20, v42, v59, -v74
	v_add_f16_e32 v43, v48, v21
	v_sub_f16_e32 v13, v39, v27
	v_add_f16_e32 v42, v44, v22
	v_add_f16_e32 v16, v62, v26
	;; [unrolled: 1-line block ×3, first 2 shown]
	v_sub_f16_e32 v36, v44, v22
	v_mul_f16_e32 v63, 0xba95, v17
	v_mul_f16_e32 v65, 0xba95, v35
	v_add_f16_e32 v39, v50, v39
	v_add_f16_e32 v44, v51, v44
	v_fma_f16 v40, v45, v53, -v70
	v_fmac_f16_e32 v32, v18, v60
	v_fma_f16 v18, v46, v60, -v73
	v_sub_f16_e32 v45, v37, v28
	v_add_f16_e32 v52, v41, v12
	v_sub_f16_e32 v49, v41, v12
	v_add_f16_e32 v46, v37, v28
	v_mul_f16_e32 v64, 0xbb7b, v13
	v_mul_f16_e32 v66, 0xbb7b, v36
	;; [unrolled: 1-line block ×4, first 2 shown]
	v_fmamk_f16 v92, v43, 0x388b, v63
	v_fma_f16 v94, v16, 0x388b, -v65
	v_add_f16_e32 v41, v44, v41
	v_add_f16_e32 v37, v39, v37
	v_sub_f16_e32 v47, v38, v29
	v_add_f16_e32 v55, v40, v15
	v_add_f16_e32 v48, v38, v29
	v_sub_f16_e32 v56, v40, v15
	v_mul_f16_e32 v68, 0xb3a8, v13
	v_mul_f16_e32 v70, 0xb3a8, v36
	;; [unrolled: 1-line block ×4, first 2 shown]
	v_fmamk_f16 v93, v42, 0xb5ac, v64
	v_fmamk_f16 v95, v43, 0x2fb7, v67
	v_add_f16_e32 v37, v37, v38
	v_fma_f16 v38, v14, 0xb5ac, -v66
	v_add_f16_e32 v92, v5, v92
	v_add_f16_e32 v94, v11, v94
	;; [unrolled: 1-line block ×3, first 2 shown]
	v_fma_f16 v41, v16, 0x2fb7, -v69
	v_fma_f16 v34, v34, v58, -v72
	v_mul_f16_e32 v72, 0x394e, v13
	v_mul_f16_e32 v74, 0x394e, v36
	;; [unrolled: 1-line block ×4, first 2 shown]
	v_fmamk_f16 v96, v42, 0xbbc4, v68
	v_fmamk_f16 v97, v43, 0xb5ac, v71
	v_add_f16_e32 v95, v5, v95
	v_add_f16_e32 v92, v93, v92
	v_fma_f16 v93, v14, 0xbbc4, -v70
	v_add_f16_e32 v38, v38, v94
	v_fma_f16 v94, v16, 0xb5ac, -v73
	v_add_f16_e32 v41, v11, v41
	v_mul_f16_e32 v76, 0x3bf1, v13
	v_mul_f16_e32 v51, 0x3bf1, v36
	;; [unrolled: 1-line block ×4, first 2 shown]
	v_fmamk_f16 v98, v42, 0xb9fd, v72
	v_fmamk_f16 v99, v43, 0xb9fd, v75
	v_add_f16_e32 v95, v96, v95
	v_fma_f16 v96, v14, 0xb9fd, -v74
	v_add_f16_e32 v97, v5, v97
	v_add_f16_e32 v94, v11, v94
	;; [unrolled: 1-line block ×3, first 2 shown]
	v_fma_f16 v93, v16, 0xb9fd, -v50
	v_mul_f16_e32 v78, 0x3770, v13
	v_mul_f16_e32 v80, 0x3770, v36
	;; [unrolled: 1-line block ×4, first 2 shown]
	v_fmamk_f16 v44, v42, 0x2fb7, v76
	v_fmamk_f16 v39, v43, 0xbbc4, v77
	v_fma_f16 v77, v43, 0xbbc4, -v77
	v_fma_f16 v75, v43, 0xb9fd, -v75
	;; [unrolled: 1-line block ×5, first 2 shown]
	v_add_f16_e32 v99, v5, v99
	v_add_f16_e32 v97, v98, v97
	v_fma_f16 v98, v14, 0x2fb7, -v51
	v_add_f16_e32 v94, v96, v94
	v_fma_f16 v96, v16, 0xbbc4, -v79
	v_add_f16_e32 v93, v11, v93
	v_fmac_f16_e32 v79, 0xbbc4, v16
	v_mul_f16_e32 v82, 0x388b, v42
	v_mul_f16_e32 v86, 0x3b7b, v49
	v_mul_f16_e32 v87, 0x3770, v45
	v_mul_f16_e32 v91, 0xb94e, v45
	v_fmamk_f16 v63, v42, 0x3b15, v78
	v_fma_f16 v78, v42, 0x3b15, -v78
	v_fma_f16 v76, v42, 0x2fb7, -v76
	;; [unrolled: 1-line block ×5, first 2 shown]
	v_add_f16_e32 v44, v44, v99
	v_fma_f16 v99, v14, 0x3b15, -v80
	v_fmac_f16_e32 v80, 0x3b15, v14
	v_add_f16_e32 v93, v98, v93
	v_fmamk_f16 v98, v52, 0xbbc4, v83
	v_add_f16_e32 v96, v11, v96
	v_add_f16_e32 v77, v5, v77
	;; [unrolled: 1-line block ×4, first 2 shown]
	v_mul_f16_e32 v85, 0x3b7b, v45
	v_mul_f16_e32 v89, 0xba95, v45
	;; [unrolled: 1-line block ×3, first 2 shown]
	v_add_f16_e32 v39, v5, v39
	v_add_f16_e32 v96, v99, v96
	v_fmamk_f16 v99, v52, 0x3b15, v87
	v_add_f16_e32 v77, v78, v77
	v_add_f16_e32 v79, v80, v79
	v_fmamk_f16 v80, v52, 0xb9fd, v91
	v_fma_f16 v91, v52, 0xb9fd, -v91
	v_fmac_f16_e32 v73, 0xb5ac, v16
	v_fmac_f16_e32 v69, 0x2fb7, v16
	v_add_f16_e32 v67, v5, v67
	v_add_f16_e32 v42, v42, v43
	v_mul_f16_e32 v43, 0xbbf1, v47
	v_add_f16_e32 v92, v98, v92
	v_fma_f16 v98, v46, 0xb5ac, -v86
	v_mul_f16_e32 v88, 0x3770, v49
	v_mul_f16_e32 v64, 0xb94e, v49
	v_fmac_f16_e32 v50, 0xb9fd, v16
	v_add_f16_e32 v39, v63, v39
	v_fmamk_f16 v63, v52, 0xb5ac, v85
	v_fmamk_f16 v78, v52, 0x388b, v89
	v_add_f16_e32 v75, v5, v75
	v_add_f16_e32 v71, v5, v71
	v_fmac_f16_e32 v74, 0xb9fd, v14
	v_add_f16_e32 v73, v11, v73
	v_fmac_f16_e32 v70, 0xbbc4, v14
	v_fmac_f16_e32 v65, 0x388b, v16
	v_add_f16_e32 v69, v11, v69
	v_add_f16_e32 v67, v68, v67
	v_fmamk_f16 v68, v17, 0x3770, v81
	v_add_f16_e32 v41, v98, v41
	v_mul_f16_e32 v98, 0x33a8, v56
	v_add_f16_e32 v97, v99, v97
	v_fma_f16 v99, v46, 0x388b, -v90
	v_add_f16_e32 v77, v91, v77
	v_fmamk_f16 v91, v55, 0x2fb7, v43
	v_sub_f16_e32 v53, v31, v30
	v_mul_f16_e32 v84, 0xb3a8, v49
	v_fma_f16 v89, v52, 0x388b, -v89
	v_fma_f16 v87, v52, 0x3b15, -v87
	;; [unrolled: 1-line block ×4, first 2 shown]
	v_mul_f16_e32 v52, 0x2fb7, v52
	v_fmac_f16_e32 v51, 0x2fb7, v14
	v_add_f16_e32 v50, v11, v50
	v_add_f16_e32 v75, v76, v75
	v_mul_f16_e32 v76, 0x394e, v47
	v_add_f16_e32 v71, v72, v71
	v_mul_f16_e32 v72, 0x3770, v47
	v_add_f16_e32 v73, v74, v73
	v_fmac_f16_e32 v66, 0xb5ac, v14
	v_add_f16_e32 v65, v11, v65
	v_add_f16_e32 v69, v70, v69
	v_fmamk_f16 v70, v13, 0x3a95, v82
	v_add_f16_e32 v68, v5, v68
	v_add_f16_e32 v63, v63, v95
	v_fma_f16 v95, v46, 0x3b15, -v88
	v_add_f16_e32 v44, v78, v44
	v_mul_f16_e32 v78, 0x3a95, v56
	v_add_f16_e32 v93, v99, v93
	v_fma_f16 v99, v46, 0xb9fd, -v64
	v_fmac_f16_e32 v88, 0x3b15, v46
	v_fmac_f16_e32 v86, 0xb5ac, v46
	v_add_f16_e32 v91, v91, v97
	v_fma_f16 v97, v48, 0xbbc4, -v98
	v_add_f16_e32 v57, v34, v19
	v_sub_f16_e32 v58, v34, v19
	v_add_f16_e32 v50, v51, v50
	v_mul_f16_e32 v51, 0x394e, v56
	v_mul_f16_e32 v74, 0x3770, v56
	v_add_f16_e32 v65, v66, v65
	v_fma_f16 v66, v46, 0xbbc4, -v84
	v_add_f16_e32 v68, v70, v68
	v_mul_f16_e32 v70, 0xbbf1, v56
	v_add_f16_e32 v39, v80, v39
	v_fmamk_f16 v80, v55, 0xb9fd, v76
	v_add_f16_e32 v96, v99, v96
	v_fmamk_f16 v99, v55, 0x3b15, v72
	v_add_f16_e32 v73, v88, v73
	v_mul_f16_e32 v88, 0xba95, v53
	v_fmac_f16_e32 v84, 0xbbc4, v46
	v_add_f16_e32 v69, v86, v69
	v_fmamk_f16 v86, v45, 0x3bf1, v52
	v_add_f16_e32 v93, v97, v93
	v_fma_f16 v97, v48, 0x388b, -v78
	v_add_f16_e32 v54, v31, v30
	v_add_f16_e32 v38, v66, v38
	v_mul_f16_e32 v66, 0x33a8, v47
	v_add_f16_e32 v94, v95, v94
	v_mul_f16_e32 v95, 0x3a95, v47
	v_fmac_f16_e32 v64, 0xb9fd, v46
	v_fmac_f16_e32 v90, 0x388b, v46
	v_add_f16_e32 v65, v84, v65
	v_fma_f16 v84, v48, 0xb9fd, -v51
	v_add_f16_e32 v68, v86, v68
	v_mul_f16_e32 v86, 0x33a8, v58
	v_add_f16_e32 v80, v80, v92
	v_fma_f16 v92, v48, 0x3b15, -v74
	v_add_f16_e32 v63, v99, v63
	v_fma_f16 v99, v48, 0x2fb7, -v70
	v_add_f16_e32 v96, v97, v96
	v_fmamk_f16 v97, v57, 0x388b, v88
	v_add_f16_e32 v64, v64, v79
	v_fmamk_f16 v79, v55, 0xbbc4, v66
	;; [unrolled: 2-line block ×3, first 2 shown]
	v_fma_f16 v95, v55, 0x388b, -v95
	v_fma_f16 v66, v55, 0xbbc4, -v66
	;; [unrolled: 1-line block ×5, first 2 shown]
	v_mul_f16_e32 v55, 0xb5ac, v55
	v_add_f16_e32 v50, v90, v50
	v_mul_f16_e32 v90, 0x3bf1, v53
	v_add_f16_e32 v71, v87, v71
	;; [unrolled: 2-line block ×6, first 2 shown]
	v_mul_f16_e32 v99, 0xbb7b, v53
	v_fmac_f16_e32 v78, 0x388b, v48
	v_fmac_f16_e32 v74, 0x3b15, v48
	;; [unrolled: 1-line block ×3, first 2 shown]
	v_add_f16_e32 v63, v97, v63
	v_fma_f16 v97, v54, 0xbbc4, -v86
	v_sub_f16_e32 v59, v33, v32
	v_sub_f16_e32 v61, v20, v18
	v_add_f16_e32 v67, v85, v67
	v_mul_f16_e32 v85, 0xba95, v58
	v_add_f16_e32 v44, v79, v44
	v_mul_f16_e32 v79, 0xbb7b, v58
	v_add_f16_e32 v39, v89, v39
	v_fmamk_f16 v89, v57, 0x2fb7, v90
	v_add_f16_e32 v77, v95, v77
	v_fmamk_f16 v95, v57, 0xbbc4, v83
	;; [unrolled: 2-line block ×4, first 2 shown]
	v_fma_f16 v99, v57, 0xb5ac, -v99
	v_fma_f16 v84, v57, 0x3b15, -v84
	;; [unrolled: 1-line block ×5, first 2 shown]
	v_mul_f16_e32 v57, 0xb9fd, v57
	v_fmac_f16_e32 v70, 0x2fb7, v48
	v_add_f16_e32 v69, v74, v69
	v_fmamk_f16 v74, v47, 0x3b7b, v55
	v_add_f16_e32 v51, v51, v65
	v_fma_f16 v65, v54, 0x2fb7, -v87
	v_add_f16_e32 v94, v97, v94
	v_fma_f16 v97, v54, 0x3b15, -v92
	v_mul_f16_e32 v35, 0xb770, v35
	v_fmac_f16_e32 v87, 0x2fb7, v54
	v_add_f16_e32 v31, v37, v31
	v_add_f16_e32 v34, v40, v34
	;; [unrolled: 1-line block ×5, first 2 shown]
	v_mul_f16_e32 v73, 0xb94e, v59
	v_add_f16_e32 v67, v72, v67
	v_mul_f16_e32 v72, 0xb94e, v61
	v_add_f16_e32 v68, v74, v68
	v_add_f16_e32 v80, v89, v80
	v_fma_f16 v89, v54, 0x388b, -v85
	v_add_f16_e32 v38, v65, v38
	v_mul_f16_e32 v65, 0xbb7b, v59
	v_mul_f16_e32 v36, 0xba95, v36
	v_add_f16_e32 v93, v97, v93
	v_fma_f16 v97, v54, 0xb5ac, -v79
	v_fmac_f16_e32 v79, 0xb5ac, v54
	v_fmac_f16_e32 v86, 0xbbc4, v54
	;; [unrolled: 1-line block ×3, first 2 shown]
	v_add_f16_e32 v39, v75, v39
	v_fmamk_f16 v75, v53, 0x394e, v57
	v_add_f16_e32 v51, v87, v51
	v_fmamk_f16 v87, v16, 0x3b15, v35
	v_add_f16_e32 v31, v31, v33
	v_add_f16_e32 v20, v34, v20
	v_mul_f16_e32 v49, 0xbbf1, v49
	v_add_f16_e32 v64, v79, v64
	v_fmamk_f16 v79, v60, 0xb9fd, v73
	v_add_f16_e32 v66, v84, v66
	v_fma_f16 v84, v62, 0xb9fd, -v72
	v_add_f16_e32 v70, v86, v70
	v_fmamk_f16 v86, v60, 0xb5ac, v65
	v_add_f16_e32 v67, v88, v67
	v_add_f16_e32 v69, v85, v69
	v_fma_f16 v65, v60, 0xb5ac, -v65
	v_fma_f16 v73, v60, 0xb9fd, -v73
	v_fmac_f16_e32 v72, 0xb9fd, v62
	v_add_f16_e32 v68, v75, v68
	v_fmamk_f16 v75, v14, 0x388b, v36
	v_add_f16_e32 v87, v11, v87
	v_add_f16_e32 v31, v31, v32
	;; [unrolled: 1-line block ×3, first 2 shown]
	v_fmac_f16_e32 v81, 0xb770, v17
	v_fma_f16 v16, v16, 0x3b15, -v35
	v_add_f16_e32 v65, v65, v66
	v_add_f16_e32 v66, v73, v67
	;; [unrolled: 1-line block ×4, first 2 shown]
	v_fmamk_f16 v72, v46, 0x2fb7, v49
	v_mul_f16_e32 v56, 0xbb7b, v56
	v_add_f16_e32 v30, v31, v30
	v_add_f16_e32 v18, v18, v19
	;; [unrolled: 1-line block ×3, first 2 shown]
	v_fmac_f16_e32 v82, 0xba95, v13
	v_add_f16_e32 v11, v11, v16
	v_fma_f16 v14, v14, 0x388b, -v36
	v_add_f16_e32 v37, v72, v69
	v_fmamk_f16 v40, v48, 0xb5ac, v56
	v_mul_f16_e32 v33, 0xb94e, v58
	v_add_f16_e32 v17, v30, v29
	v_add_f16_e32 v15, v18, v15
	v_fmac_f16_e32 v98, 0xbbc4, v48
	v_add_f16_e32 v5, v82, v5
	v_fmac_f16_e32 v52, 0xbbf1, v45
	v_add_f16_e32 v11, v14, v11
	v_fma_f16 v14, v46, 0x2fb7, -v49
	v_add_f16_e32 v34, v40, v37
	v_mul_f16_e32 v37, 0xbbc4, v60
	v_fmamk_f16 v32, v54, 0xb9fd, v33
	v_mul_f16_e32 v40, 0xb3a8, v61
	v_add_f16_e32 v13, v17, v28
	v_add_f16_e32 v12, v15, v12
	;; [unrolled: 1-line block ×3, first 2 shown]
	v_mul_f16_e32 v98, 0x3770, v59
	v_add_f16_e32 v43, v43, v71
	v_mul_f16_e32 v71, 0x3770, v61
	v_add_f16_e32 v42, v76, v42
	v_add_f16_e32 v5, v52, v5
	v_fmac_f16_e32 v55, 0xbb7b, v47
	v_add_f16_e32 v11, v14, v11
	v_fma_f16 v14, v48, 0xb5ac, -v56
	v_mul_f16_e32 v76, 0x3a95, v59
	v_mul_f16_e32 v74, 0x3a95, v61
	v_add_f16_e32 v41, v89, v41
	v_mul_f16_e32 v89, 0xbb7b, v61
	v_fmac_f16_e32 v92, 0x3b15, v54
	v_fmamk_f16 v20, v59, 0x33a8, v37
	v_add_f16_e32 v32, v32, v34
	v_fmamk_f16 v34, v62, 0xbbc4, v40
	v_add_f16_e32 v13, v13, v27
	v_add_f16_e32 v12, v12, v22
	v_mov_b32_e32 v15, 0x270
	v_mov_b32_e32 v16, 2
	v_add_f16_e32 v91, v95, v91
	v_mul_f16_e32 v95, 0x3bf1, v59
	v_add_f16_e32 v44, v78, v44
	v_mul_f16_e32 v78, 0x3bf1, v61
	v_add_f16_e32 v77, v99, v77
	v_fma_f16 v99, v62, 0x3b15, -v71
	v_add_f16_e32 v42, v90, v42
	v_fma_f16 v73, v60, 0x3b15, -v98
	v_fmac_f16_e32 v71, 0x3b15, v62
	v_add_f16_e32 v5, v55, v5
	v_fmac_f16_e32 v57, 0xb94e, v53
	v_add_f16_e32 v11, v14, v11
	v_fma_f16 v14, v54, 0xb9fd, -v33
	v_add_f16_e32 v50, v92, v50
	v_fmamk_f16 v92, v60, 0x388b, v76
	v_add_f16_e32 v43, v83, v43
	v_fma_f16 v83, v62, 0x388b, -v74
	v_fma_f16 v88, v62, 0xb5ac, -v89
	v_fmac_f16_e32 v89, 0xb5ac, v62
	v_fma_f16 v76, v60, 0x388b, -v76
	v_add_f16_e32 v19, v20, v68
	v_add_f16_e32 v20, v34, v32
	v_fmac_f16_e32 v74, 0x388b, v62
	v_add_f16_e32 v13, v13, v26
	v_add_f16_e32 v12, v12, v21
	v_mul_u32_u24_sdwa v15, v24, v15 dst_sel:DWORD dst_unused:UNUSED_PAD src0_sel:WORD_0 src1_sel:DWORD
	v_lshlrev_b32_sdwa v16, v16, v25 dst_sel:DWORD dst_unused:UNUSED_PAD src0_sel:DWORD src1_sel:BYTE_0
	v_add_f16_e32 v96, v97, v96
	v_fmamk_f16 v85, v60, 0x2fb7, v95
	v_fma_f16 v90, v62, 0x2fb7, -v78
	v_fma_f16 v95, v60, 0x2fb7, -v95
	v_fmac_f16_e32 v78, 0x2fb7, v62
	v_add_f16_e32 v42, v73, v42
	v_add_f16_e32 v51, v71, v51
	v_fmamk_f16 v97, v60, 0x3b15, v98
	v_add_f16_e32 v5, v57, v5
	v_fmac_f16_e32 v37, 0xb3a8, v59
	v_add_f16_e32 v11, v14, v11
	v_fma_f16 v14, v62, 0xbbc4, -v40
	v_add_f16_e32 v50, v89, v50
	v_add_f16_e32 v43, v76, v43
	v_add3_u32 v15, 0, v15, v16
	v_pack_b32_f16 v12, v13, v12
	v_pack_b32_f16 v13, v20, v19
	v_add_f16_e32 v18, v74, v70
	v_add_f16_e32 v39, v85, v39
	;; [unrolled: 1-line block ×5, first 2 shown]
	v_pack_b32_f16 v16, v51, v42
	v_pack_b32_f16 v17, v67, v66
	v_add_f16_e32 v63, v79, v63
	v_add_f16_e32 v41, v84, v41
	;; [unrolled: 1-line block ×10, first 2 shown]
	ds_write2_b32 v15, v12, v13 offset1:12
	ds_write2_b32 v15, v16, v17 offset0:24 offset1:36
	v_pack_b32_f16 v12, v18, v43
	v_pack_b32_f16 v13, v50, v65
	;; [unrolled: 1-line block ×9, first 2 shown]
	ds_write2_b32 v15, v12, v13 offset0:48 offset1:60
	ds_write2_b32 v15, v14, v16 offset0:72 offset1:84
	;; [unrolled: 1-line block ×4, first 2 shown]
	ds_write_b32 v15, v5 offset:576
.LBB0_21:
	s_or_b32 exec_lo, exec_lo, s1
	v_subrev_nc_u32_e32 v11, 39, v0
	v_lshrrev_b16 v13, 2, v7
	v_mov_b32_e32 v14, 0xd21
	v_cmp_gt_u32_e64 s0, 39, v0
	v_mov_b32_e32 v5, 0
	s_waitcnt lgkmcnt(0)
	s_barrier
	buffer_gl0_inv
	v_cndmask_b32_e64 v38, v11, v9, s0
	v_mul_u32_u24_sdwa v9, v13, v14 dst_sel:DWORD dst_unused:UNUSED_PAD src0_sel:WORD_0 src1_sel:DWORD
	v_lshlrev_b64 v[11:12], 2, v[4:5]
	v_add_nc_u32_e32 v13, 0x1200, v23
	ds_read2_b32 v[26:27], v23 offset1:117
	v_lshlrev_b32_e32 v4, 1, v38
	v_lshrrev_b32_e32 v39, 17, v9
	v_lshrrev_b16 v9, 2, v1
	v_add_co_u32 v15, s0, s8, v11
	v_add_co_ci_u32_e64 v16, s0, s9, v12, s0
	v_lshlrev_b64 v[11:12], 2, v[4:5]
	v_mul_lo_u16 v4, 0x9c, v39
	v_mul_u32_u24_sdwa v9, v9, v14 dst_sel:DWORD dst_unused:UNUSED_PAD src0_sel:WORD_0 src1_sel:DWORD
	global_load_dwordx2 v[17:18], v[15:16], off offset:616
	v_add_nc_u32_e32 v14, 0x200, v23
	v_mov_b32_e32 v43, 2
	v_sub_nc_u16 v40, v7, v4
	v_lshrrev_b32_e32 v7, 17, v9
	v_mov_b32_e32 v4, 3
	v_add_co_u32 v11, s0, s8, v11
	v_add_co_ci_u32_e64 v12, s0, s9, v12, s0
	v_mul_lo_u16 v7, 0x9c, v7
	v_lshlrev_b32_sdwa v4, v4, v40 dst_sel:DWORD dst_unused:UNUSED_PAD src0_sel:DWORD src1_sel:WORD_0
	v_cmp_lt_u32_e64 s0, 38, v0
	global_load_dwordx2 v[19:20], v[11:12], off offset:616
	v_mul_u32_u24_e32 v39, 0x750, v39
	v_sub_nc_u16 v1, v1, v7
	global_load_dwordx2 v[21:22], v4, s[8:9] offset:616
	v_add_nc_u32_e32 v12, 0xa00, v23
	v_lshlrev_b32_sdwa v40, v43, v40 dst_sel:DWORD dst_unused:UNUSED_PAD src0_sel:DWORD src1_sel:WORD_0
	v_cndmask_b32_e64 v42, 0, 0x750, s0
	v_and_b32_e32 v41, 0xffff, v1
	v_lshlrev_b32_e32 v38, 2, v38
	s_waitcnt lgkmcnt(0)
	v_lshrrev_b32_e32 v44, 16, v27
	v_add3_u32 v39, 0, v39, v40
	v_mov_b32_e32 v11, v5
	v_lshlrev_b32_e32 v1, 3, v41
	v_lshl_add_u32 v40, v41, 2, 0
	v_add3_u32 v38, 0, v42, v38
	v_lshrrev_b32_e32 v42, 16, v26
	v_mov_b32_e32 v9, v5
	global_load_dwordx2 v[24:25], v1, s[8:9] offset:616
	v_add_nc_u32_e32 v1, 0x600, v23
	v_add_nc_u32_e32 v4, 0xe00, v23
	ds_read2_b32 v[28:29], v1 offset0:84 offset1:201
	ds_read2_b32 v[30:31], v14 offset0:106 offset1:223
	ds_read2_b32 v[32:33], v13 offset0:18 offset1:135
	ds_read2_b32 v[34:35], v4 offset0:40 offset1:157
	ds_read2_b32 v[36:37], v12 offset0:62 offset1:179
	v_lshlrev_b64 v[10:11], 2, v[10:11]
	v_mov_b32_e32 v7, v5
	v_lshlrev_b64 v[8:9], 2, v[8:9]
	s_waitcnt vmcnt(0) lgkmcnt(0)
	s_barrier
	buffer_gl0_inv
	v_lshlrev_b64 v[6:7], 2, v[6:7]
	v_add_co_u32 v10, s0, s8, v10
	v_add_co_ci_u32_e64 v11, s0, s9, v11, s0
	v_add_co_u32 v8, s0, s8, v8
	v_add_co_ci_u32_e64 v9, s0, s9, v9, s0
	v_lshrrev_b32_e32 v50, 16, v28
	v_lshrrev_b32_e32 v51, 16, v29
	;; [unrolled: 1-line block ×10, first 2 shown]
	v_add_co_u32 v6, s0, s8, v6
	v_add_nc_u32_e32 v57, 0xe00, v40
	v_add_co_ci_u32_e64 v7, s0, s9, v7, s0
	v_mul_f16_sdwa v41, v17, v50 dst_sel:DWORD dst_unused:UNUSED_PAD src0_sel:WORD_1 src1_sel:DWORD
	v_mul_f16_sdwa v54, v17, v28 dst_sel:DWORD dst_unused:UNUSED_PAD src0_sel:WORD_1 src1_sel:DWORD
	;; [unrolled: 1-line block ×4, first 2 shown]
	v_fmac_f16_e32 v41, v17, v28
	v_fma_f16 v17, v17, v50, -v54
	v_fmac_f16_e32 v55, v18, v34
	v_fma_f16 v18, v18, v43, -v56
	v_add_f16_e32 v54, v26, v41
	v_add_f16_e32 v59, v42, v17
	;; [unrolled: 1-line block ×3, first 2 shown]
	v_mul_f16_sdwa v28, v19, v51 dst_sel:DWORD dst_unused:UNUSED_PAD src0_sel:WORD_1 src1_sel:DWORD
	v_mul_f16_sdwa v34, v19, v29 dst_sel:DWORD dst_unused:UNUSED_PAD src0_sel:WORD_1 src1_sel:DWORD
	;; [unrolled: 1-line block ×4, first 2 shown]
	v_sub_f16_e32 v58, v17, v18
	v_add_f16_e32 v17, v17, v18
	v_mul_f16_sdwa v60, v21, v53 dst_sel:DWORD dst_unused:UNUSED_PAD src0_sel:WORD_1 src1_sel:DWORD
	v_mul_f16_sdwa v61, v21, v36 dst_sel:DWORD dst_unused:UNUSED_PAD src0_sel:WORD_1 src1_sel:DWORD
	v_mul_f16_sdwa v62, v46, v22 dst_sel:DWORD dst_unused:UNUSED_PAD src0_sel:DWORD src1_sel:WORD_1
	v_mul_f16_sdwa v63, v32, v22 dst_sel:DWORD dst_unused:UNUSED_PAD src0_sel:DWORD src1_sel:WORD_1
	v_sub_f16_e32 v41, v41, v55
	v_fmac_f16_e32 v28, v19, v29
	v_fma_f16 v19, v19, v51, -v34
	v_fmac_f16_e32 v43, v20, v35
	v_fma_f16 v20, v20, v52, -v50
	v_fma_f16 v26, -0.5, v56, v26
	v_fmac_f16_e32 v42, -0.5, v17
	v_fmac_f16_e32 v60, v21, v36
	v_fma_f16 v17, v21, v53, -v61
	v_fmac_f16_e32 v62, v32, v22
	v_fma_f16 v21, v46, v22, -v63
	v_mul_f16_sdwa v22, v48, v24 dst_sel:DWORD dst_unused:UNUSED_PAD src0_sel:DWORD src1_sel:WORD_1
	v_mul_f16_sdwa v32, v37, v24 dst_sel:DWORD dst_unused:UNUSED_PAD src0_sel:DWORD src1_sel:WORD_1
	;; [unrolled: 1-line block ×4, first 2 shown]
	v_add_f16_e32 v29, v54, v55
	v_add_f16_e32 v18, v59, v18
	v_fmamk_f16 v36, v58, 0xbaee, v26
	v_fmamk_f16 v46, v41, 0x3aee, v42
	v_add_f16_e32 v50, v28, v43
	v_sub_f16_e32 v51, v19, v20
	v_add_f16_e32 v52, v44, v19
	v_add_f16_e32 v19, v19, v20
	v_fmac_f16_e32 v22, v37, v24
	v_fma_f16 v24, v48, v24, -v32
	v_fmac_f16_e32 v34, v33, v25
	v_fma_f16 v25, v49, v25, -v35
	v_add_f16_e32 v32, v60, v62
	v_add_f16_e32 v35, v45, v17
	v_fmac_f16_e32 v42, 0xbaee, v41
	v_add_f16_e32 v41, v27, v28
	v_sub_f16_e32 v33, v17, v21
	v_add_f16_e32 v17, v17, v21
	v_fmac_f16_e32 v26, 0x3aee, v58
	v_sub_f16_e32 v28, v28, v43
	v_pack_b32_f16 v18, v29, v18
	v_add_f16_e32 v29, v30, v60
	v_fmac_f16_e32 v27, -0.5, v50
	v_fmac_f16_e32 v44, -0.5, v19
	v_pack_b32_f16 v19, v36, v46
	v_fma_f16 v30, -0.5, v32, v30
	v_add_f16_e32 v21, v35, v21
	v_add_f16_e32 v32, v22, v34
	v_sub_f16_e32 v35, v24, v25
	v_add_f16_e32 v36, v47, v24
	v_add_f16_e32 v24, v24, v25
	v_sub_f16_e32 v37, v60, v62
	v_add_f16_e32 v41, v41, v43
	v_add_f16_e32 v20, v52, v20
	v_fmac_f16_e32 v45, -0.5, v17
	v_pack_b32_f16 v26, v26, v42
	v_add_f16_e32 v17, v31, v22
	v_sub_f16_e32 v22, v22, v34
	v_fmamk_f16 v42, v51, 0xbaee, v27
	v_fmac_f16_e32 v27, 0x3aee, v51
	v_fmamk_f16 v43, v28, 0x3aee, v44
	v_fmac_f16_e32 v44, 0xbaee, v28
	v_fmac_f16_e32 v31, -0.5, v32
	v_fmac_f16_e32 v47, -0.5, v24
	v_add_f16_e32 v29, v29, v62
	ds_write2_b32 v23, v18, v19 offset1:156
	ds_write_b32 v23, v26 offset:1248
	v_pack_b32_f16 v18, v41, v20
	v_fmamk_f16 v19, v33, 0xbaee, v30
	v_fmamk_f16 v20, v37, 0x3aee, v45
	v_fmac_f16_e32 v30, 0x3aee, v33
	v_fmac_f16_e32 v45, 0xbaee, v37
	v_add_f16_e32 v17, v17, v34
	v_add_f16_e32 v25, v36, v25
	v_pack_b32_f16 v24, v42, v43
	v_pack_b32_f16 v26, v27, v44
	v_fmamk_f16 v27, v35, 0xbaee, v31
	v_fmamk_f16 v28, v22, 0x3aee, v47
	v_fmac_f16_e32 v31, 0x3aee, v35
	v_fmac_f16_e32 v47, 0xbaee, v22
	v_pack_b32_f16 v21, v29, v21
	v_pack_b32_f16 v19, v19, v20
	;; [unrolled: 1-line block ×4, first 2 shown]
	ds_write2_b32 v38, v18, v24 offset1:156
	v_pack_b32_f16 v18, v27, v28
	v_pack_b32_f16 v22, v31, v47
	ds_write_b32 v38, v26 offset:1248
	ds_write2_b32 v39, v21, v19 offset1:156
	ds_write_b32 v39, v20 offset:1248
	ds_write2_b32 v57, v17, v18 offset0:40 offset1:196
	ds_write_b32 v40, v22 offset:4992
	s_waitcnt lgkmcnt(0)
	s_barrier
	buffer_gl0_inv
	s_clause 0x3
	global_load_dwordx2 v[15:16], v[15:16], off offset:1864
	global_load_dwordx2 v[10:11], v[10:11], off offset:1864
	;; [unrolled: 1-line block ×4, first 2 shown]
	ds_read2_b32 v[17:18], v23 offset1:117
	ds_read2_b32 v[19:20], v14 offset0:106 offset1:223
	ds_read2_b32 v[21:22], v13 offset0:18 offset1:135
	ds_read2_b32 v[24:25], v12 offset0:62 offset1:179
	ds_read2_b32 v[26:27], v1 offset0:84 offset1:201
	ds_read2_b32 v[28:29], v4 offset0:40 offset1:157
	s_waitcnt vmcnt(0) lgkmcnt(0)
	s_barrier
	buffer_gl0_inv
	v_lshrrev_b32_e32 v30, 16, v17
	v_lshrrev_b32_e32 v31, 16, v18
	;; [unrolled: 1-line block ×12, first 2 shown]
	v_mul_f16_sdwa v42, v15, v37 dst_sel:DWORD dst_unused:UNUSED_PAD src0_sel:WORD_1 src1_sel:DWORD
	v_mul_f16_sdwa v43, v15, v26 dst_sel:DWORD dst_unused:UNUSED_PAD src0_sel:WORD_1 src1_sel:DWORD
	;; [unrolled: 1-line block ×10, first 2 shown]
	v_mul_f16_sdwa v52, v33, v9 dst_sel:DWORD dst_unused:UNUSED_PAD src0_sel:DWORD src1_sel:WORD_1
	v_mul_f16_sdwa v53, v21, v9 dst_sel:DWORD dst_unused:UNUSED_PAD src0_sel:DWORD src1_sel:WORD_1
	;; [unrolled: 1-line block ×6, first 2 shown]
	v_fmac_f16_e32 v42, v15, v26
	v_fma_f16 v15, v15, v37, -v43
	v_fmac_f16_e32 v44, v16, v28
	v_fma_f16 v16, v16, v38, -v45
	;; [unrolled: 2-line block ×8, first 2 shown]
	v_add_f16_e32 v22, v42, v44
	v_sub_f16_e32 v24, v15, v16
	v_add_f16_e32 v25, v30, v15
	v_add_f16_e32 v15, v15, v16
	;; [unrolled: 1-line block ×3, first 2 shown]
	v_sub_f16_e32 v29, v10, v11
	v_add_f16_e32 v33, v31, v10
	v_add_f16_e32 v10, v10, v11
	;; [unrolled: 1-line block ×4, first 2 shown]
	v_sub_f16_e32 v26, v42, v44
	v_add_f16_e32 v37, v50, v52
	v_sub_f16_e32 v38, v8, v9
	v_add_f16_e32 v39, v32, v8
	v_add_f16_e32 v8, v8, v9
	;; [unrolled: 1-line block ×3, first 2 shown]
	v_sub_f16_e32 v43, v6, v7
	v_add_f16_e32 v45, v34, v6
	v_add_f16_e32 v6, v6, v7
	;; [unrolled: 1-line block ×4, first 2 shown]
	v_sub_f16_e32 v35, v46, v48
	v_fma_f16 v17, -0.5, v22, v17
	v_fmac_f16_e32 v30, -0.5, v15
	v_fmac_f16_e32 v18, -0.5, v28
	;; [unrolled: 1-line block ×3, first 2 shown]
	v_add_f16_e32 v21, v21, v44
	v_add_f16_e32 v16, v25, v16
	;; [unrolled: 1-line block ×4, first 2 shown]
	v_sub_f16_e32 v40, v50, v52
	v_sub_f16_e32 v46, v54, v56
	v_fma_f16 v19, -0.5, v37, v19
	v_fmac_f16_e32 v32, -0.5, v8
	v_fmac_f16_e32 v20, -0.5, v42
	;; [unrolled: 1-line block ×3, first 2 shown]
	v_add_f16_e32 v10, v36, v52
	v_add_f16_e32 v9, v39, v9
	;; [unrolled: 1-line block ×4, first 2 shown]
	v_fmamk_f16 v6, v24, 0xbaee, v17
	v_fmac_f16_e32 v17, 0x3aee, v24
	v_fmamk_f16 v22, v26, 0x3aee, v30
	v_fmamk_f16 v24, v29, 0xbaee, v18
	;; [unrolled: 1-line block ×3, first 2 shown]
	v_fmac_f16_e32 v30, 0xbaee, v26
	v_fmac_f16_e32 v18, 0x3aee, v29
	;; [unrolled: 1-line block ×3, first 2 shown]
	v_pack_b32_f16 v16, v21, v16
	v_pack_b32_f16 v11, v15, v11
	v_fmamk_f16 v26, v38, 0xbaee, v19
	v_fmamk_f16 v27, v40, 0x3aee, v32
	;; [unrolled: 1-line block ×4, first 2 shown]
	v_fmac_f16_e32 v19, 0x3aee, v38
	v_fmac_f16_e32 v32, 0xbaee, v40
	;; [unrolled: 1-line block ×4, first 2 shown]
	v_pack_b32_f16 v9, v10, v9
	v_pack_b32_f16 v7, v8, v7
	;; [unrolled: 1-line block ×5, first 2 shown]
	ds_write2_b32 v23, v16, v11 offset1:117
	v_pack_b32_f16 v11, v18, v31
	v_pack_b32_f16 v15, v26, v27
	;; [unrolled: 1-line block ×5, first 2 shown]
	ds_write2_b32 v14, v9, v7 offset0:106 offset1:223
	ds_write2_b32 v1, v6, v10 offset0:84 offset1:201
	;; [unrolled: 1-line block ×5, first 2 shown]
	s_waitcnt lgkmcnt(0)
	s_barrier
	buffer_gl0_inv
	s_and_saveexec_b32 s0, vcc_lo
	s_cbranch_execz .LBB0_23
; %bb.22:
	v_lshl_add_u32 v16, v0, 2, 0
	v_mov_b32_e32 v1, v5
	v_add_nc_u32_e32 v4, 0x75, v0
	v_add_co_u32 v18, vcc_lo, s2, v2
	ds_read2_b32 v[6:7], v16 offset1:117
	v_add_co_ci_u32_e32 v19, vcc_lo, s3, v3, vcc_lo
	v_add_nc_u32_e32 v3, 0x200, v16
	v_lshlrev_b64 v[8:9], 2, v[0:1]
	v_lshlrev_b64 v[1:2], 2, v[4:5]
	v_add_nc_u32_e32 v4, 0xea, v0
	ds_read2_b32 v[10:11], v3 offset0:106 offset1:223
	v_add_nc_u32_e32 v3, 0x600, v16
	v_add_co_u32 v8, vcc_lo, v18, v8
	v_lshlrev_b64 v[12:13], 2, v[4:5]
	v_add_nc_u32_e32 v4, 0x15f, v0
	v_add_co_ci_u32_e32 v9, vcc_lo, v19, v9, vcc_lo
	v_add_co_u32 v1, vcc_lo, v18, v1
	v_add_co_ci_u32_e32 v2, vcc_lo, v19, v2, vcc_lo
	v_lshlrev_b64 v[14:15], 2, v[4:5]
	s_waitcnt lgkmcnt(1)
	global_store_dword v[8:9], v6, off
	global_store_dword v[1:2], v7, off
	v_add_co_u32 v1, vcc_lo, v18, v12
	v_add_co_ci_u32_e32 v2, vcc_lo, v19, v13, vcc_lo
	v_add_co_u32 v6, vcc_lo, v18, v14
	v_add_nc_u32_e32 v4, 0x1d4, v0
	v_add_co_ci_u32_e32 v7, vcc_lo, v19, v15, vcc_lo
	v_add_nc_u32_e32 v12, 0xa00, v16
	s_waitcnt lgkmcnt(0)
	global_store_dword v[1:2], v10, off
	global_store_dword v[6:7], v11, off
	v_lshlrev_b64 v[8:9], 2, v[4:5]
	v_add_nc_u32_e32 v4, 0x249, v0
	ds_read2_b32 v[1:2], v3 offset0:84 offset1:201
	ds_read2_b32 v[10:11], v12 offset0:62 offset1:179
	v_add_nc_u32_e32 v3, 0xe00, v16
	v_lshlrev_b64 v[6:7], 2, v[4:5]
	v_add_nc_u32_e32 v4, 0x2be, v0
	v_add_co_u32 v8, vcc_lo, v18, v8
	v_add_co_ci_u32_e32 v9, vcc_lo, v19, v9, vcc_lo
	v_lshlrev_b64 v[12:13], 2, v[4:5]
	v_add_nc_u32_e32 v4, 0x333, v0
	v_add_co_u32 v6, vcc_lo, v18, v6
	v_add_co_ci_u32_e32 v7, vcc_lo, v19, v7, vcc_lo
	v_add_co_u32 v12, vcc_lo, v18, v12
	v_lshlrev_b64 v[14:15], 2, v[4:5]
	v_add_nc_u32_e32 v4, 0x3a8, v0
	v_add_co_ci_u32_e32 v13, vcc_lo, v19, v13, vcc_lo
	s_waitcnt lgkmcnt(1)
	global_store_dword v[8:9], v1, off
	global_store_dword v[6:7], v2, off
	s_waitcnt lgkmcnt(0)
	global_store_dword v[12:13], v10, off
	v_lshlrev_b64 v[1:2], 2, v[4:5]
	v_add_nc_u32_e32 v4, 0x41d, v0
	v_add_nc_u32_e32 v10, 0x1200, v16
	v_add_co_u32 v6, vcc_lo, v18, v14
	ds_read2_b32 v[8:9], v3 offset0:40 offset1:157
	v_lshlrev_b64 v[12:13], 2, v[4:5]
	v_add_nc_u32_e32 v4, 0x492, v0
	v_add_co_ci_u32_e32 v7, vcc_lo, v19, v15, vcc_lo
	ds_read2_b32 v[14:15], v10 offset0:18 offset1:135
	v_add_co_u32 v1, vcc_lo, v18, v1
	v_lshlrev_b64 v[16:17], 2, v[4:5]
	v_add_nc_u32_e32 v4, 0x507, v0
	v_add_co_ci_u32_e32 v2, vcc_lo, v19, v2, vcc_lo
	v_add_co_u32 v12, vcc_lo, v18, v12
	v_lshlrev_b64 v[3:4], 2, v[4:5]
	v_add_co_ci_u32_e32 v13, vcc_lo, v19, v13, vcc_lo
	v_add_co_u32 v16, vcc_lo, v18, v16
	v_add_co_ci_u32_e32 v17, vcc_lo, v19, v17, vcc_lo
	v_add_co_u32 v3, vcc_lo, v18, v3
	v_add_co_ci_u32_e32 v4, vcc_lo, v19, v4, vcc_lo
	global_store_dword v[6:7], v11, off
	s_waitcnt lgkmcnt(1)
	global_store_dword v[1:2], v8, off
	global_store_dword v[12:13], v9, off
	s_waitcnt lgkmcnt(0)
	global_store_dword v[16:17], v14, off
	global_store_dword v[3:4], v15, off
.LBB0_23:
	s_endpgm
	.section	.rodata,"a",@progbits
	.p2align	6, 0x0
	.amdhsa_kernel fft_rtc_back_len1404_factors_2_2_3_13_3_3_wgs_117_tpt_117_halfLds_half_ip_CI_unitstride_sbrr_C2R_dirReg
		.amdhsa_group_segment_fixed_size 0
		.amdhsa_private_segment_fixed_size 0
		.amdhsa_kernarg_size 88
		.amdhsa_user_sgpr_count 6
		.amdhsa_user_sgpr_private_segment_buffer 1
		.amdhsa_user_sgpr_dispatch_ptr 0
		.amdhsa_user_sgpr_queue_ptr 0
		.amdhsa_user_sgpr_kernarg_segment_ptr 1
		.amdhsa_user_sgpr_dispatch_id 0
		.amdhsa_user_sgpr_flat_scratch_init 0
		.amdhsa_user_sgpr_private_segment_size 0
		.amdhsa_wavefront_size32 1
		.amdhsa_uses_dynamic_stack 0
		.amdhsa_system_sgpr_private_segment_wavefront_offset 0
		.amdhsa_system_sgpr_workgroup_id_x 1
		.amdhsa_system_sgpr_workgroup_id_y 0
		.amdhsa_system_sgpr_workgroup_id_z 0
		.amdhsa_system_sgpr_workgroup_info 0
		.amdhsa_system_vgpr_workitem_id 0
		.amdhsa_next_free_vgpr 100
		.amdhsa_next_free_sgpr 21
		.amdhsa_reserve_vcc 1
		.amdhsa_reserve_flat_scratch 0
		.amdhsa_float_round_mode_32 0
		.amdhsa_float_round_mode_16_64 0
		.amdhsa_float_denorm_mode_32 3
		.amdhsa_float_denorm_mode_16_64 3
		.amdhsa_dx10_clamp 1
		.amdhsa_ieee_mode 1
		.amdhsa_fp16_overflow 0
		.amdhsa_workgroup_processor_mode 1
		.amdhsa_memory_ordered 1
		.amdhsa_forward_progress 0
		.amdhsa_shared_vgpr_count 0
		.amdhsa_exception_fp_ieee_invalid_op 0
		.amdhsa_exception_fp_denorm_src 0
		.amdhsa_exception_fp_ieee_div_zero 0
		.amdhsa_exception_fp_ieee_overflow 0
		.amdhsa_exception_fp_ieee_underflow 0
		.amdhsa_exception_fp_ieee_inexact 0
		.amdhsa_exception_int_div_zero 0
	.end_amdhsa_kernel
	.text
.Lfunc_end0:
	.size	fft_rtc_back_len1404_factors_2_2_3_13_3_3_wgs_117_tpt_117_halfLds_half_ip_CI_unitstride_sbrr_C2R_dirReg, .Lfunc_end0-fft_rtc_back_len1404_factors_2_2_3_13_3_3_wgs_117_tpt_117_halfLds_half_ip_CI_unitstride_sbrr_C2R_dirReg
                                        ; -- End function
	.section	.AMDGPU.csdata,"",@progbits
; Kernel info:
; codeLenInByte = 10848
; NumSgprs: 23
; NumVgprs: 100
; ScratchSize: 0
; MemoryBound: 0
; FloatMode: 240
; IeeeMode: 1
; LDSByteSize: 0 bytes/workgroup (compile time only)
; SGPRBlocks: 2
; VGPRBlocks: 12
; NumSGPRsForWavesPerEU: 23
; NumVGPRsForWavesPerEU: 100
; Occupancy: 9
; WaveLimiterHint : 1
; COMPUTE_PGM_RSRC2:SCRATCH_EN: 0
; COMPUTE_PGM_RSRC2:USER_SGPR: 6
; COMPUTE_PGM_RSRC2:TRAP_HANDLER: 0
; COMPUTE_PGM_RSRC2:TGID_X_EN: 1
; COMPUTE_PGM_RSRC2:TGID_Y_EN: 0
; COMPUTE_PGM_RSRC2:TGID_Z_EN: 0
; COMPUTE_PGM_RSRC2:TIDIG_COMP_CNT: 0
	.text
	.p2alignl 6, 3214868480
	.fill 48, 4, 3214868480
	.type	__hip_cuid_ac471e063b5d5591,@object ; @__hip_cuid_ac471e063b5d5591
	.section	.bss,"aw",@nobits
	.globl	__hip_cuid_ac471e063b5d5591
__hip_cuid_ac471e063b5d5591:
	.byte	0                               ; 0x0
	.size	__hip_cuid_ac471e063b5d5591, 1

	.ident	"AMD clang version 19.0.0git (https://github.com/RadeonOpenCompute/llvm-project roc-6.4.0 25133 c7fe45cf4b819c5991fe208aaa96edf142730f1d)"
	.section	".note.GNU-stack","",@progbits
	.addrsig
	.addrsig_sym __hip_cuid_ac471e063b5d5591
	.amdgpu_metadata
---
amdhsa.kernels:
  - .args:
      - .actual_access:  read_only
        .address_space:  global
        .offset:         0
        .size:           8
        .value_kind:     global_buffer
      - .offset:         8
        .size:           8
        .value_kind:     by_value
      - .actual_access:  read_only
        .address_space:  global
        .offset:         16
        .size:           8
        .value_kind:     global_buffer
      - .actual_access:  read_only
        .address_space:  global
        .offset:         24
        .size:           8
        .value_kind:     global_buffer
      - .offset:         32
        .size:           8
        .value_kind:     by_value
      - .actual_access:  read_only
        .address_space:  global
        .offset:         40
        .size:           8
        .value_kind:     global_buffer
      - .actual_access:  read_only
        .address_space:  global
        .offset:         48
        .size:           8
        .value_kind:     global_buffer
      - .offset:         56
        .size:           4
        .value_kind:     by_value
      - .actual_access:  read_only
        .address_space:  global
        .offset:         64
        .size:           8
        .value_kind:     global_buffer
      - .actual_access:  read_only
        .address_space:  global
        .offset:         72
        .size:           8
        .value_kind:     global_buffer
      - .address_space:  global
        .offset:         80
        .size:           8
        .value_kind:     global_buffer
    .group_segment_fixed_size: 0
    .kernarg_segment_align: 8
    .kernarg_segment_size: 88
    .language:       OpenCL C
    .language_version:
      - 2
      - 0
    .max_flat_workgroup_size: 117
    .name:           fft_rtc_back_len1404_factors_2_2_3_13_3_3_wgs_117_tpt_117_halfLds_half_ip_CI_unitstride_sbrr_C2R_dirReg
    .private_segment_fixed_size: 0
    .sgpr_count:     23
    .sgpr_spill_count: 0
    .symbol:         fft_rtc_back_len1404_factors_2_2_3_13_3_3_wgs_117_tpt_117_halfLds_half_ip_CI_unitstride_sbrr_C2R_dirReg.kd
    .uniform_work_group_size: 1
    .uses_dynamic_stack: false
    .vgpr_count:     100
    .vgpr_spill_count: 0
    .wavefront_size: 32
    .workgroup_processor_mode: 1
amdhsa.target:   amdgcn-amd-amdhsa--gfx1030
amdhsa.version:
  - 1
  - 2
...

	.end_amdgpu_metadata
